;; amdgpu-corpus repo=zjin-lcf/HeCBench kind=compiled arch=gfx906 opt=O3
	.amdgcn_target "amdgcn-amd-amdhsa--gfx906"
	.amdhsa_code_object_version 6
	.text
	.protected	_Z8SSSP_gpuPK4NodePK4EdgePiS5_PKiS5_S7_S5_S5_S5_S7_S5_ ; -- Begin function _Z8SSSP_gpuPK4NodePK4EdgePiS5_PKiS5_S7_S5_S5_S5_S7_S5_
	.globl	_Z8SSSP_gpuPK4NodePK4EdgePiS5_PKiS5_S7_S5_S5_S5_S7_S5_
	.p2align	8
	.type	_Z8SSSP_gpuPK4NodePK4EdgePiS5_PKiS5_S7_S5_S5_S5_S7_S5_,@function
_Z8SSSP_gpuPK4NodePK4EdgePiS5_PKiS5_S7_S5_S5_S5_S7_S5_: ; @_Z8SSSP_gpuPK4NodePK4EdgePiS5_PKiS5_S7_S5_S5_S5_S7_S5_
; %bb.0:
	s_load_dwordx8 s[16:23], s[4:5], 0x20
	s_load_dwordx8 s[8:15], s[4:5], 0x40
	s_load_dwordx8 s[24:31], s[4:5], 0x0
	s_load_dword s0, s[4:5], 0x6c
	s_waitcnt lgkmcnt(0)
	s_load_dword s33, s[20:21], 0x0
	s_load_dword s34, s[12:13], 0x0
	s_and_b32 s7, s0, 0xffff
	v_cmp_eq_u32_e64 s[0:1], 0, v0
	s_and_saveexec_b64 s[2:3], s[0:1]
	s_cbranch_execz .LBB0_4
; %bb.1:
	s_mov_b64 s[4:5], exec
	v_mbcnt_lo_u32_b32 v2, s4, 0
	v_mbcnt_hi_u32_b32 v2, s5, v2
	v_mov_b32_e32 v1, 0
	v_cmp_eq_u32_e32 vcc, 0, v2
	ds_write_b32 v1, v1 offset:6408
                                        ; implicit-def: $vgpr3
	s_and_saveexec_b64 s[12:13], vcc
	s_cbranch_execz .LBB0_3
; %bb.2:
	s_bcnt1_i32_b64 s4, s[4:5]
	s_mul_i32 s4, s7, s4
	v_mov_b32_e32 v3, s4
	global_atomic_add v3, v1, v3, s[22:23] glc
.LBB0_3:
	s_or_b64 exec, exec, s[12:13]
	s_waitcnt vmcnt(0)
	v_readfirstlane_b32 s4, v3
	v_mov_b32_e32 v3, s4
	v_mad_u32_u24 v2, s7, v2, v3
	ds_write_b32 v1, v2 offset:6404
.LBB0_4:
	s_or_b64 exec, exec, s[2:3]
	v_mov_b32_e32 v8, 0
	s_waitcnt lgkmcnt(0)
	s_barrier
	ds_read_b32 v3, v8 offset:6404
	v_lshlrev_b32_e32 v7, 2, v0
	s_waitcnt lgkmcnt(0)
	v_cmp_le_i32_e32 vcc, s33, v3
	s_cbranch_vccnz .LBB0_35
; %bb.5:
	s_lshl_b32 s35, s7, 2
	s_add_u32 s36, s26, 4
	v_lshlrev_b32_e32 v9, 2, v0
	s_addc_u32 s37, s27, 0
	s_movk_i32 s38, 0x320
	v_mov_b32_e32 v10, 0xfe7965
	s_movk_i32 s39, 0x640
	v_mov_b32_e32 v11, 1
	s_branch .LBB0_8
.LBB0_6:                                ;   in Loop: Header=BB0_8 Depth=1
	s_or_b64 exec, exec, s[4:5]
	s_waitcnt vmcnt(0)
	v_readfirstlane_b32 s4, v2
	v_mov_b32_e32 v2, s4
	v_mad_u32_u24 v1, s7, v1, v2
	ds_write_b32 v8, v1 offset:6404
.LBB0_7:                                ;   in Loop: Header=BB0_8 Depth=1
	s_or_b64 exec, exec, s[2:3]
	s_waitcnt vmcnt(0) lgkmcnt(0)
	s_barrier
	ds_read_b32 v3, v8 offset:6404
	s_waitcnt lgkmcnt(0)
	v_cmp_gt_i32_e32 vcc, s33, v3
	s_cbranch_vccz .LBB0_35
.LBB0_8:                                ; =>This Loop Header: Depth=1
                                        ;     Child Loop BB0_15 Depth 2
                                        ;     Child Loop BB0_24 Depth 2
	ds_read_b32 v1, v8 offset:6408
	s_waitcnt lgkmcnt(0)
	v_cmp_gt_i32_e32 vcc, s38, v1
	s_cbranch_vccnz .LBB0_19
; %bb.9:                                ;   in Loop: Header=BB0_8 Depth=1
	s_and_saveexec_b64 s[2:3], s[0:1]
	s_cbranch_execz .LBB0_13
; %bb.10:                               ;   in Loop: Header=BB0_8 Depth=1
	s_mov_b64 s[12:13], exec
	v_mbcnt_lo_u32_b32 v2, s12, 0
	v_mbcnt_hi_u32_b32 v2, s13, v2
	v_cmp_eq_u32_e32 vcc, 0, v2
                                        ; implicit-def: $vgpr4
	s_and_saveexec_b64 s[4:5], vcc
	s_cbranch_execz .LBB0_12
; %bb.11:                               ;   in Loop: Header=BB0_8 Depth=1
	s_bcnt1_i32_b64 s12, s[12:13]
	v_mul_lo_u32 v4, v1, s12
	global_atomic_add v4, v8, v4, s[8:9] glc
.LBB0_12:                               ;   in Loop: Header=BB0_8 Depth=1
	s_or_b64 exec, exec, s[4:5]
	v_mul_lo_u32 v1, v1, v2
	s_waitcnt vmcnt(0)
	v_readfirstlane_b32 s4, v4
	v_add_u32_e32 v1, s4, v1
	ds_write_b32 v8, v1 offset:6400
.LBB0_13:                               ;   in Loop: Header=BB0_8 Depth=1
	s_or_b64 exec, exec, s[2:3]
	s_waitcnt lgkmcnt(0)
	s_barrier
	ds_read_b32 v4, v8 offset:6408
	s_waitcnt lgkmcnt(0)
	v_cmp_lt_i32_e32 vcc, v0, v4
	s_and_saveexec_b64 s[2:3], vcc
	s_cbranch_execz .LBB0_16
; %bb.14:                               ;   in Loop: Header=BB0_8 Depth=1
	ds_read_b32 v1, v8 offset:6400
	v_mov_b32_e32 v5, s19
	s_mov_b64 s[4:5], 0
	v_mov_b32_e32 v6, v0
	s_waitcnt lgkmcnt(0)
	v_ashrrev_i32_e32 v2, 31, v1
	v_add_co_u32_e32 v1, vcc, v0, v1
	v_addc_co_u32_e32 v2, vcc, 0, v2, vcc
	v_lshlrev_b64 v[1:2], 2, v[1:2]
	v_add_co_u32_e32 v1, vcc, s18, v1
	v_addc_co_u32_e32 v2, vcc, v5, v2, vcc
	v_mov_b32_e32 v5, v9
.LBB0_15:                               ;   Parent Loop BB0_8 Depth=1
                                        ; =>  This Inner Loop Header: Depth=2
	ds_read_b32 v12, v5
	v_add_u32_e32 v6, s7, v6
	v_cmp_ge_i32_e32 vcc, v6, v4
	s_or_b64 s[4:5], vcc, s[4:5]
	v_add_u32_e32 v5, s35, v5
	s_waitcnt lgkmcnt(0)
	global_store_dword v[1:2], v12, off
	v_add_co_u32_e32 v1, vcc, s35, v1
	v_addc_co_u32_e32 v2, vcc, 0, v2, vcc
	s_andn2_b64 exec, exec, s[4:5]
	s_cbranch_execnz .LBB0_15
.LBB0_16:                               ;   in Loop: Header=BB0_8 Depth=1
	s_or_b64 exec, exec, s[2:3]
	s_waitcnt vmcnt(0)
	s_barrier
	s_and_saveexec_b64 s[2:3], s[0:1]
; %bb.17:                               ;   in Loop: Header=BB0_8 Depth=1
	ds_write_b32 v8, v8 offset:6408
; %bb.18:                               ;   in Loop: Header=BB0_8 Depth=1
	s_or_b64 exec, exec, s[2:3]
	s_waitcnt lgkmcnt(0)
	s_barrier
.LBB0_19:                               ;   in Loop: Header=BB0_8 Depth=1
	v_add_u32_e32 v1, v3, v0
	v_cmp_gt_i32_e32 vcc, s33, v1
	s_and_saveexec_b64 s[2:3], vcc
	s_cbranch_execz .LBB0_32
; %bb.20:                               ;   in Loop: Header=BB0_8 Depth=1
	global_load_dword v2, v8, s[10:11]
	s_waitcnt vmcnt(0)
	v_cmp_ne_u32_e32 vcc, 0, v2
	s_cbranch_vccnz .LBB0_32
; %bb.21:                               ;   in Loop: Header=BB0_8 Depth=1
	v_ashrrev_i32_e32 v2, 31, v1
	v_lshlrev_b64 v[1:2], 2, v[1:2]
	v_mov_b32_e32 v3, s17
	v_add_co_u32_e32 v1, vcc, s16, v1
	v_addc_co_u32_e32 v2, vcc, v3, v2, vcc
	global_load_dword v1, v[1:2], off
	v_mov_b32_e32 v6, s31
	v_mov_b32_e32 v12, s25
	s_waitcnt vmcnt(0)
	v_ashrrev_i32_e32 v2, 31, v1
	v_lshlrev_b64 v[3:4], 2, v[1:2]
	v_lshlrev_b64 v[1:2], 3, v[1:2]
	v_add_co_u32_e32 v5, vcc, s30, v3
	v_addc_co_u32_e32 v6, vcc, v6, v4, vcc
	v_add_co_u32_e32 v1, vcc, s24, v1
	global_atomic_swap v[5:6], v10, off
	v_addc_co_u32_e32 v2, vcc, v12, v2, vcc
	global_load_dwordx2 v[1:2], v[1:2], off
	s_waitcnt vmcnt(0)
	v_cmp_lt_i32_e32 vcc, 0, v2
	s_and_b64 exec, exec, vcc
	s_cbranch_execz .LBB0_32
; %bb.22:                               ;   in Loop: Header=BB0_8 Depth=1
	v_mov_b32_e32 v5, s29
	v_add_co_u32_e32 v3, vcc, s28, v3
	v_addc_co_u32_e32 v4, vcc, v5, v4, vcc
	global_load_dword v12, v[3:4], off
	v_add_u32_e32 v13, v2, v1
	v_ashrrev_i32_e32 v2, 31, v1
	v_lshlrev_b64 v[2:3], 3, v[1:2]
	v_mov_b32_e32 v4, s37
	v_add_co_u32_e32 v2, vcc, s36, v2
	v_addc_co_u32_e32 v3, vcc, v4, v3, vcc
	s_mov_b64 s[4:5], 0
	s_branch .LBB0_24
.LBB0_23:                               ;   in Loop: Header=BB0_24 Depth=2
	s_or_b64 exec, exec, s[12:13]
	v_add_u32_e32 v1, 1, v1
	v_cmp_ge_i32_e32 vcc, v1, v13
	s_or_b64 s[4:5], vcc, s[4:5]
	v_add_co_u32_e32 v2, vcc, 8, v2
	v_addc_co_u32_e32 v3, vcc, 0, v3, vcc
	s_andn2_b64 exec, exec, s[4:5]
	s_cbranch_execz .LBB0_32
.LBB0_24:                               ;   Parent Loop BB0_8 Depth=1
                                        ; =>  This Inner Loop Header: Depth=2
	global_load_dwordx2 v[4:5], v[2:3], off offset:-4
	v_mov_b32_e32 v15, s29
	s_waitcnt vmcnt(0)
	v_add_u32_e32 v16, v5, v12
	v_ashrrev_i32_e32 v5, 31, v4
	v_lshlrev_b64 v[5:6], 2, v[4:5]
	v_add_co_u32_e32 v14, vcc, s28, v5
	v_addc_co_u32_e32 v15, vcc, v15, v6, vcc
	global_atomic_smax v14, v[14:15], v16, off glc
	s_waitcnt vmcnt(0)
	v_cmp_lt_i32_e32 vcc, v14, v16
	s_and_saveexec_b64 s[12:13], vcc
	s_cbranch_execz .LBB0_23
; %bb.25:                               ;   in Loop: Header=BB0_24 Depth=2
	v_mov_b32_e32 v14, s31
	v_add_co_u32_e32 v5, vcc, s30, v5
	v_addc_co_u32_e32 v6, vcc, v14, v6, vcc
	v_mov_b32_e32 v14, s34
	global_atomic_smax v5, v[5:6], v14, off glc
	s_waitcnt vmcnt(0)
	v_cmp_ne_u32_e32 vcc, s34, v5
	s_and_b64 exec, exec, vcc
	s_cbranch_execz .LBB0_23
; %bb.26:                               ;   in Loop: Header=BB0_24 Depth=2
	s_mov_b64 s[26:27], exec
	v_mbcnt_lo_u32_b32 v5, s26, 0
	v_mbcnt_hi_u32_b32 v5, s27, v5
	v_cmp_eq_u32_e32 vcc, 0, v5
                                        ; implicit-def: $vgpr6
	s_and_saveexec_b64 s[20:21], vcc
; %bb.27:                               ;   in Loop: Header=BB0_24 Depth=2
	s_bcnt1_i32_b64 s26, s[26:27]
	v_mov_b32_e32 v6, s26
	ds_add_rtn_u32 v6, v8, v6 offset:6408
; %bb.28:                               ;   in Loop: Header=BB0_24 Depth=2
	s_or_b64 exec, exec, s[20:21]
	s_waitcnt lgkmcnt(0)
	v_readfirstlane_b32 s20, v6
	v_add_u32_e32 v5, s20, v5
	v_cmp_gt_i32_e32 vcc, s39, v5
	s_and_saveexec_b64 s[20:21], vcc
	s_xor_b64 s[20:21], exec, s[20:21]
; %bb.29:                               ;   in Loop: Header=BB0_24 Depth=2
	v_lshlrev_b32_e32 v5, 2, v5
	ds_write_b32 v5, v4
; %bb.30:                               ;   in Loop: Header=BB0_24 Depth=2
	s_andn2_saveexec_b64 s[20:21], s[20:21]
	s_cbranch_execz .LBB0_23
; %bb.31:                               ;   in Loop: Header=BB0_24 Depth=2
	global_store_dword v8, v11, s[10:11]
	s_branch .LBB0_23
.LBB0_32:                               ;   in Loop: Header=BB0_8 Depth=1
	s_or_b64 exec, exec, s[2:3]
	s_and_saveexec_b64 s[2:3], s[0:1]
	s_cbranch_execz .LBB0_7
; %bb.33:                               ;   in Loop: Header=BB0_8 Depth=1
	s_mov_b64 s[12:13], exec
	v_mbcnt_lo_u32_b32 v1, s12, 0
	v_mbcnt_hi_u32_b32 v1, s13, v1
	v_cmp_eq_u32_e32 vcc, 0, v1
                                        ; implicit-def: $vgpr2
	s_and_saveexec_b64 s[4:5], vcc
	s_cbranch_execz .LBB0_6
; %bb.34:                               ;   in Loop: Header=BB0_8 Depth=1
	s_bcnt1_i32_b64 s12, s[12:13]
	s_mul_i32 s12, s7, s12
	v_mov_b32_e32 v2, s12
	global_atomic_add v2, v8, v2, s[22:23] glc
	s_branch .LBB0_6
.LBB0_35:
	s_and_saveexec_b64 s[2:3], s[0:1]
	s_cbranch_execz .LBB0_39
; %bb.36:
	v_mov_b32_e32 v1, 0
	ds_read_b32 v2, v1 offset:6408
	s_mov_b64 s[0:1], exec
	v_mbcnt_lo_u32_b32 v3, s0, 0
	v_mbcnt_hi_u32_b32 v3, s1, v3
	v_cmp_eq_u32_e32 vcc, 0, v3
                                        ; implicit-def: $vgpr4
	s_and_saveexec_b64 s[4:5], vcc
	s_cbranch_execz .LBB0_38
; %bb.37:
	s_bcnt1_i32_b64 s0, s[0:1]
	s_waitcnt lgkmcnt(0)
	v_mul_lo_u32 v4, v2, s0
	global_atomic_add v4, v1, v4, s[8:9] glc
.LBB0_38:
	s_or_b64 exec, exec, s[4:5]
	s_waitcnt lgkmcnt(0)
	v_mul_lo_u32 v2, v2, v3
	s_waitcnt vmcnt(0)
	v_readfirstlane_b32 s0, v4
	v_add_u32_e32 v2, s0, v2
	ds_write_b32 v1, v2 offset:6400
.LBB0_39:
	s_or_b64 exec, exec, s[2:3]
	v_mov_b32_e32 v1, 0
	s_waitcnt lgkmcnt(0)
	s_barrier
	ds_read_b32 v3, v1 offset:6408
	s_waitcnt lgkmcnt(0)
	v_cmp_lt_i32_e32 vcc, v0, v3
	s_and_saveexec_b64 s[0:1], vcc
	s_cbranch_execz .LBB0_42
; %bb.40:
	ds_read_b32 v1, v1 offset:6400
	v_mov_b32_e32 v4, s19
	s_lshl_b32 s4, s7, 2
	s_mov_b64 s[2:3], 0
	s_waitcnt lgkmcnt(0)
	v_ashrrev_i32_e32 v2, 31, v1
	v_add_co_u32_e32 v1, vcc, v1, v0
	v_addc_co_u32_e32 v2, vcc, 0, v2, vcc
	v_lshlrev_b64 v[1:2], 2, v[1:2]
	v_add_co_u32_e32 v1, vcc, s18, v1
	v_addc_co_u32_e32 v2, vcc, v4, v2, vcc
	v_mov_b32_e32 v4, v0
.LBB0_41:                               ; =>This Inner Loop Header: Depth=1
	ds_read_b32 v5, v7
	v_add_u32_e32 v4, s7, v4
	v_cmp_ge_i32_e32 vcc, v4, v3
	s_or_b64 s[2:3], vcc, s[2:3]
	v_add_u32_e32 v7, s4, v7
	s_waitcnt lgkmcnt(0)
	global_store_dword v[1:2], v5, off
	v_add_co_u32_e32 v1, vcc, s4, v1
	v_addc_co_u32_e32 v2, vcc, 0, v2, vcc
	s_andn2_b64 exec, exec, s[2:3]
	s_cbranch_execnz .LBB0_41
.LBB0_42:
	s_or_b64 exec, exec, s[0:1]
	s_mul_i32 s6, s6, s7
	v_sub_u32_e32 v0, 0, v0
	v_cmp_eq_u32_e32 vcc, s6, v0
	s_and_saveexec_b64 s[0:1], vcc
	s_cbranch_execz .LBB0_45
; %bb.43:
	s_mov_b64 s[0:1], exec
	v_mbcnt_lo_u32_b32 v0, s0, 0
	v_mbcnt_hi_u32_b32 v0, s1, v0
	v_cmp_eq_u32_e32 vcc, 0, v0
	s_and_b64 s[2:3], exec, vcc
	s_mov_b64 exec, s[2:3]
	s_cbranch_execz .LBB0_45
; %bb.44:
	s_bcnt1_i32_b64 s0, s[0:1]
	v_mov_b32_e32 v0, 0
	v_mov_b32_e32 v1, s0
	global_atomic_add v0, v1, s[14:15]
.LBB0_45:
	s_endpgm
	.section	.rodata,"a",@progbits
	.p2align	6, 0x0
	.amdhsa_kernel _Z8SSSP_gpuPK4NodePK4EdgePiS5_PKiS5_S7_S5_S5_S5_S7_S5_
		.amdhsa_group_segment_fixed_size 6412
		.amdhsa_private_segment_fixed_size 0
		.amdhsa_kernarg_size 352
		.amdhsa_user_sgpr_count 6
		.amdhsa_user_sgpr_private_segment_buffer 1
		.amdhsa_user_sgpr_dispatch_ptr 0
		.amdhsa_user_sgpr_queue_ptr 0
		.amdhsa_user_sgpr_kernarg_segment_ptr 1
		.amdhsa_user_sgpr_dispatch_id 0
		.amdhsa_user_sgpr_flat_scratch_init 0
		.amdhsa_user_sgpr_private_segment_size 0
		.amdhsa_uses_dynamic_stack 0
		.amdhsa_system_sgpr_private_segment_wavefront_offset 0
		.amdhsa_system_sgpr_workgroup_id_x 1
		.amdhsa_system_sgpr_workgroup_id_y 0
		.amdhsa_system_sgpr_workgroup_id_z 0
		.amdhsa_system_sgpr_workgroup_info 0
		.amdhsa_system_vgpr_workitem_id 0
		.amdhsa_next_free_vgpr 29
		.amdhsa_next_free_sgpr 61
		.amdhsa_reserve_vcc 1
		.amdhsa_reserve_flat_scratch 0
		.amdhsa_float_round_mode_32 0
		.amdhsa_float_round_mode_16_64 0
		.amdhsa_float_denorm_mode_32 3
		.amdhsa_float_denorm_mode_16_64 3
		.amdhsa_dx10_clamp 1
		.amdhsa_ieee_mode 1
		.amdhsa_fp16_overflow 0
		.amdhsa_exception_fp_ieee_invalid_op 0
		.amdhsa_exception_fp_denorm_src 0
		.amdhsa_exception_fp_ieee_div_zero 0
		.amdhsa_exception_fp_ieee_overflow 0
		.amdhsa_exception_fp_ieee_underflow 0
		.amdhsa_exception_fp_ieee_inexact 0
		.amdhsa_exception_int_div_zero 0
	.end_amdhsa_kernel
	.text
.Lfunc_end0:
	.size	_Z8SSSP_gpuPK4NodePK4EdgePiS5_PKiS5_S7_S5_S5_S5_S7_S5_, .Lfunc_end0-_Z8SSSP_gpuPK4NodePK4EdgePiS5_PKiS5_S7_S5_S5_S5_S7_S5_
                                        ; -- End function
	.set _Z8SSSP_gpuPK4NodePK4EdgePiS5_PKiS5_S7_S5_S5_S5_S7_S5_.num_vgpr, 17
	.set _Z8SSSP_gpuPK4NodePK4EdgePiS5_PKiS5_S7_S5_S5_S5_S7_S5_.num_agpr, 0
	.set _Z8SSSP_gpuPK4NodePK4EdgePiS5_PKiS5_S7_S5_S5_S5_S7_S5_.numbered_sgpr, 40
	.set _Z8SSSP_gpuPK4NodePK4EdgePiS5_PKiS5_S7_S5_S5_S5_S7_S5_.num_named_barrier, 0
	.set _Z8SSSP_gpuPK4NodePK4EdgePiS5_PKiS5_S7_S5_S5_S5_S7_S5_.private_seg_size, 0
	.set _Z8SSSP_gpuPK4NodePK4EdgePiS5_PKiS5_S7_S5_S5_S5_S7_S5_.uses_vcc, 1
	.set _Z8SSSP_gpuPK4NodePK4EdgePiS5_PKiS5_S7_S5_S5_S5_S7_S5_.uses_flat_scratch, 0
	.set _Z8SSSP_gpuPK4NodePK4EdgePiS5_PKiS5_S7_S5_S5_S5_S7_S5_.has_dyn_sized_stack, 0
	.set _Z8SSSP_gpuPK4NodePK4EdgePiS5_PKiS5_S7_S5_S5_S5_S7_S5_.has_recursion, 0
	.set _Z8SSSP_gpuPK4NodePK4EdgePiS5_PKiS5_S7_S5_S5_S5_S7_S5_.has_indirect_call, 0
	.section	.AMDGPU.csdata,"",@progbits
; Kernel info:
; codeLenInByte = 1464
; TotalNumSgprs: 44
; NumVgprs: 17
; ScratchSize: 0
; MemoryBound: 0
; FloatMode: 240
; IeeeMode: 1
; LDSByteSize: 6412 bytes/workgroup (compile time only)
; SGPRBlocks: 8
; VGPRBlocks: 7
; NumSGPRsForWavesPerEU: 65
; NumVGPRsForWavesPerEU: 29
; Occupancy: 8
; WaveLimiterHint : 1
; COMPUTE_PGM_RSRC2:SCRATCH_EN: 0
; COMPUTE_PGM_RSRC2:USER_SGPR: 6
; COMPUTE_PGM_RSRC2:TRAP_HANDLER: 0
; COMPUTE_PGM_RSRC2:TGID_X_EN: 1
; COMPUTE_PGM_RSRC2:TGID_Y_EN: 0
; COMPUTE_PGM_RSRC2:TGID_Z_EN: 0
; COMPUTE_PGM_RSRC2:TIDIG_COMP_CNT: 0
	.section	.AMDGPU.gpr_maximums,"",@progbits
	.set amdgpu.max_num_vgpr, 0
	.set amdgpu.max_num_agpr, 0
	.set amdgpu.max_num_sgpr, 0
	.section	.AMDGPU.csdata,"",@progbits
	.type	__hip_cuid_a589519f338586a9,@object ; @__hip_cuid_a589519f338586a9
	.section	.bss,"aw",@nobits
	.globl	__hip_cuid_a589519f338586a9
__hip_cuid_a589519f338586a9:
	.byte	0                               ; 0x0
	.size	__hip_cuid_a589519f338586a9, 1

	.ident	"AMD clang version 22.0.0git (https://github.com/RadeonOpenCompute/llvm-project roc-7.2.4 26084 f58b06dce1f9c15707c5f808fd002e18c2accf7e)"
	.section	".note.GNU-stack","",@progbits
	.addrsig
	.addrsig_sym __hip_cuid_a589519f338586a9
	.amdgpu_metadata
---
amdhsa.kernels:
  - .args:
      - .actual_access:  read_only
        .address_space:  global
        .offset:         0
        .size:           8
        .value_kind:     global_buffer
      - .actual_access:  read_only
        .address_space:  global
        .offset:         8
        .size:           8
        .value_kind:     global_buffer
      - .address_space:  global
        .offset:         16
        .size:           8
        .value_kind:     global_buffer
      - .address_space:  global
        .offset:         24
        .size:           8
        .value_kind:     global_buffer
      - .actual_access:  read_only
        .address_space:  global
        .offset:         32
        .size:           8
        .value_kind:     global_buffer
      - .actual_access:  write_only
        .address_space:  global
        .offset:         40
        .size:           8
        .value_kind:     global_buffer
      - .actual_access:  read_only
        .address_space:  global
        .offset:         48
        .size:           8
        .value_kind:     global_buffer
      - .address_space:  global
        .offset:         56
        .size:           8
        .value_kind:     global_buffer
      - .address_space:  global
        .offset:         64
        .size:           8
        .value_kind:     global_buffer
      - .address_space:  global
        .offset:         72
        .size:           8
        .value_kind:     global_buffer
      - .actual_access:  read_only
        .address_space:  global
        .offset:         80
        .size:           8
        .value_kind:     global_buffer
      - .address_space:  global
        .offset:         88
        .size:           8
        .value_kind:     global_buffer
      - .offset:         96
        .size:           4
        .value_kind:     hidden_block_count_x
      - .offset:         100
        .size:           4
        .value_kind:     hidden_block_count_y
      - .offset:         104
        .size:           4
        .value_kind:     hidden_block_count_z
      - .offset:         108
        .size:           2
        .value_kind:     hidden_group_size_x
      - .offset:         110
        .size:           2
        .value_kind:     hidden_group_size_y
      - .offset:         112
        .size:           2
        .value_kind:     hidden_group_size_z
      - .offset:         114
        .size:           2
        .value_kind:     hidden_remainder_x
      - .offset:         116
        .size:           2
        .value_kind:     hidden_remainder_y
      - .offset:         118
        .size:           2
        .value_kind:     hidden_remainder_z
      - .offset:         136
        .size:           8
        .value_kind:     hidden_global_offset_x
      - .offset:         144
        .size:           8
        .value_kind:     hidden_global_offset_y
      - .offset:         152
        .size:           8
        .value_kind:     hidden_global_offset_z
      - .offset:         160
        .size:           2
        .value_kind:     hidden_grid_dims
    .group_segment_fixed_size: 6412
    .kernarg_segment_align: 8
    .kernarg_segment_size: 352
    .language:       OpenCL C
    .language_version:
      - 2
      - 0
    .max_flat_workgroup_size: 1024
    .name:           _Z8SSSP_gpuPK4NodePK4EdgePiS5_PKiS5_S7_S5_S5_S5_S7_S5_
    .private_segment_fixed_size: 0
    .sgpr_count:     44
    .sgpr_spill_count: 0
    .symbol:         _Z8SSSP_gpuPK4NodePK4EdgePiS5_PKiS5_S7_S5_S5_S5_S7_S5_.kd
    .uniform_work_group_size: 1
    .uses_dynamic_stack: false
    .vgpr_count:     17
    .vgpr_spill_count: 0
    .wavefront_size: 64
amdhsa.target:   amdgcn-amd-amdhsa--gfx906
amdhsa.version:
  - 1
  - 2
...

	.end_amdgpu_metadata
